;; amdgpu-corpus repo=amd/amd-lab-notes kind=compiled arch=gfx1030 opt=O3
	.amdgcn_target "amdgcn-amd-amdhsa--gfx1030"
	.amdhsa_code_object_version 6
	.text
	.protected	_Z6kernelPdS_S_S_S_S_S_S_S_S_S_S_S_S_S_S_S_S_S_S_S_S_S_S_S_S_S_S_S_S_S_iiiiiiiddddddddddddddd ; -- Begin function _Z6kernelPdS_S_S_S_S_S_S_S_S_S_S_S_S_S_S_S_S_S_S_S_S_S_S_S_S_S_S_S_S_S_iiiiiiiddddddddddddddd
	.globl	_Z6kernelPdS_S_S_S_S_S_S_S_S_S_S_S_S_S_S_S_S_S_S_S_S_S_S_S_S_S_S_S_S_S_iiiiiiiddddddddddddddd
	.p2align	8
	.type	_Z6kernelPdS_S_S_S_S_S_S_S_S_S_S_S_S_S_S_S_S_S_S_S_S_S_S_S_S_S_S_S_S_S_iiiiiiiddddddddddddddd,@function
_Z6kernelPdS_S_S_S_S_S_S_S_S_S_S_S_S_S_S_S_S_S_S_S_S_S_S_S_S_S_S_S_S_S_iiiiiiiddddddddddddddd: ; @_Z6kernelPdS_S_S_S_S_S_S_S_S_S_S_S_S_S_S_S_S_S_S_S_S_S_S_S_S_S_S_S_S_S_iiiiiiiddddddddddddddd
; %bb.0:
	s_clause 0x1
	s_load_dwordx2 s[10:11], s[4:5], 0x19c
	s_load_dwordx4 s[0:3], s[4:5], 0xf8
	s_waitcnt lgkmcnt(0)
	s_and_b32 s9, s11, 0xffff
	s_lshr_b32 s11, s10, 16
	s_and_b32 s10, s10, 0xffff
	v_mad_u64_u32 v[3:4], null, s6, s10, v[0:1]
	v_mad_u64_u32 v[0:1], null, s7, s11, v[1:2]
	;; [unrolled: 1-line block ×3, first 2 shown]
	v_cmp_ge_i32_e32 vcc_lo, s0, v3
	v_cmp_ge_i32_e64 s0, s1, v0
	s_and_b32 s0, vcc_lo, s0
	v_cmp_ge_i32_e64 s1, s2, v1
	s_and_b32 s0, s0, s1
	s_and_saveexec_b32 s1, s0
	s_cbranch_execz .LBB0_2
; %bb.1:
	s_clause 0x5
	s_load_dwordx4 s[88:91], s[4:5], 0x108
	s_load_dwordx16 s[36:51], s[4:5], 0x40
	s_load_dwordx16 s[8:23], s[4:5], 0x80
	;; [unrolled: 1-line block ×3, first 2 shown]
	s_load_dwordx8 s[24:31], s[4:5], 0xc0
	s_load_dwordx8 s[80:87], s[4:5], 0xe0
	s_waitcnt lgkmcnt(0)
	v_mad_u64_u32 v[0:1], null, v1, s88, v[0:1]
	s_mul_i32 s0, s88, s3
	v_mad_u64_u32 v[0:1], null, v0, s3, v[3:4]
	v_add_nc_u32_e32 v2, s89, v0
	v_ashrrev_i32_e32 v1, 31, v0
	v_ashrrev_i32_e32 v3, 31, v2
	v_lshlrev_b64 v[23:24], 3, v[0:1]
	v_lshlrev_b64 v[45:46], 3, v[2:3]
	v_add_co_u32 v31, vcc_lo, s44, v23
	v_add_co_ci_u32_e64 v32, null, s45, v24, vcc_lo
	v_add_co_u32 v29, vcc_lo, s46, v45
	v_add_co_ci_u32_e64 v30, null, s47, v46, vcc_lo
	v_add_co_u32 v43, vcc_lo, s48, v45
	global_load_dwordx2 v[5:6], v[31:32], off
	global_load_dwordx2 v[53:54], v[29:30], off
	v_add_co_ci_u32_e64 v44, null, s49, v46, vcc_lo
	v_add_co_u32 v41, vcc_lo, s50, v45
	v_add_co_ci_u32_e64 v42, null, s51, v46, vcc_lo
	global_load_dwordx2 v[59:60], v[43:44], off
	v_add_co_u32 v35, vcc_lo, s8, v45
	global_load_dwordx2 v[47:48], v[41:42], off
	v_add_co_ci_u32_e64 v36, null, s9, v46, vcc_lo
	v_add_co_u32 v25, vcc_lo, s10, v45
	v_add_co_ci_u32_e64 v26, null, s11, v46, vcc_lo
	global_load_dwordx2 v[61:62], v[35:36], off
	v_add_co_u32 v19, vcc_lo, s12, v45
	;; [unrolled: 6-line block ×3, first 2 shown]
	global_load_dwordx2 v[63:64], v[11:12], off
	v_add_co_ci_u32_e64 v2, null, s65, v24, vcc_lo
	v_add_co_u32 v3, vcc_lo, s66, v23
	v_add_co_ci_u32_e64 v4, null, s67, v24, vcc_lo
	global_load_dwordx2 v[49:50], v[1:2], off
	global_load_dwordx2 v[15:16], v[3:4], off
	v_add_co_u32 v13, vcc_lo, s16, v45
	v_add_co_ci_u32_e64 v14, null, s17, v46, vcc_lo
	v_add_co_u32 v7, vcc_lo, s18, v45
	v_add_co_ci_u32_e64 v8, null, s19, v46, vcc_lo
	global_load_dwordx2 v[65:66], v[13:14], off
	v_add_co_u32 v3, vcc_lo, s20, v45
	global_load_dwordx2 v[67:68], v[7:8], off
	v_add_co_ci_u32_e64 v4, null, s21, v46, vcc_lo
	v_add_co_u32 v1, vcc_lo, s22, v45
	v_add_co_ci_u32_e64 v2, null, s23, v46, vcc_lo
	global_load_dwordx2 v[69:70], v[3:4], off
	v_add_co_u32 v71, vcc_lo, s74, v23
	global_load_dwordx2 v[57:58], v[1:2], off
	v_add_co_ci_u32_e64 v72, null, s75, v24, vcc_lo
	v_add_co_u32 v37, vcc_lo, s24, v45
	v_add_co_ci_u32_e64 v38, null, s25, v46, vcc_lo
	global_load_dwordx2 v[73:74], v[71:72], off
	v_add_co_u32 v33, vcc_lo, s26, v45
	global_load_dwordx2 v[75:76], v[37:38], off
	v_add_co_ci_u32_e64 v34, null, s27, v46, vcc_lo
	v_add_co_u32 v27, vcc_lo, s28, v45
	v_add_co_ci_u32_e64 v28, null, s29, v46, vcc_lo
	global_load_dwordx2 v[77:78], v[33:34], off
	v_add_co_u32 v21, vcc_lo, s30, v45
	global_load_dwordx2 v[79:80], v[27:28], off
	v_add_co_ci_u32_e64 v22, null, s31, v46, vcc_lo
	v_add_co_u32 v17, vcc_lo, s80, v45
	v_add_co_ci_u32_e64 v18, null, s81, v46, vcc_lo
	global_load_dwordx2 v[81:82], v[21:22], off
	v_add_co_u32 v39, vcc_lo, s68, v23
	global_load_dwordx2 v[83:84], v[17:18], off
	v_add_co_ci_u32_e64 v40, null, s69, v24, vcc_lo
	v_add_co_u32 v9, vcc_lo, s82, v45
	v_add_co_ci_u32_e64 v10, null, s83, v46, vcc_lo
	global_load_dwordx2 v[39:40], v[39:40], off
	global_load_dwordx2 v[85:86], v[9:10], off
	s_load_dwordx16 s[52:67], s[4:5], 0x118
	s_waitcnt lgkmcnt(0)
	v_mul_f64 v[95:96], 0x40080000, s[58:59]
	s_waitcnt vmcnt(20)
	v_add_f64 v[5:6], v[5:6], v[53:54]
	s_waitcnt vmcnt(19)
	v_add_f64 v[53:54], v[53:54], -v[59:60]
	v_add_f64 v[5:6], v[5:6], v[59:60]
	s_waitcnt vmcnt(14)
	v_add_f64 v[53:54], v[53:54], v[63:64]
	s_waitcnt vmcnt(13)
	v_mul_f64 v[91:92], s[54:55], v[49:50]
	v_fma_f64 v[93:94], v[49:50], v[49:50], -s[56:57]
	s_waitcnt vmcnt(12)
	v_mul_f64 v[15:16], s[52:53], v[15:16]
	v_add_f64 v[87:88], v[5:6], v[47:48]
	v_add_co_u32 v5, vcc_lo, s84, v45
	v_add_co_ci_u32_e64 v6, null, s85, v46, vcc_lo
	v_add_f64 v[47:48], v[47:48], -v[61:62]
	s_waitcnt vmcnt(11)
	v_add_f64 v[53:54], v[53:54], -v[65:66]
	global_load_dwordx2 v[89:90], v[5:6], off
	v_fma_f64 v[15:16], v[91:92], v[93:94], -v[15:16]
	v_add_f64 v[87:88], v[87:88], v[61:62]
	v_add_f64 v[47:48], v[47:48], v[63:64]
	s_waitcnt vmcnt(11)
	v_add_f64 v[53:54], v[53:54], v[67:68]
	v_add_f64 v[87:88], v[87:88], v[51:52]
	v_add_f64 v[51:52], v[51:52], -v[55:56]
	v_add_f64 v[47:48], v[47:48], -v[65:66]
	s_waitcnt vmcnt(10)
	v_add_f64 v[53:54], v[53:54], -v[69:70]
	v_add_f64 v[87:88], v[87:88], v[55:56]
	s_waitcnt vmcnt(9)
	v_add_f64 v[51:52], v[51:52], v[57:58]
	v_add_f64 v[47:48], v[47:48], -v[67:68]
	v_add_f64 v[53:54], v[53:54], v[57:58]
	v_add_f64 v[87:88], v[87:88], v[63:64]
	s_waitcnt vmcnt(7)
	v_add_f64 v[51:52], v[51:52], -v[75:76]
	v_add_f64 v[47:48], v[47:48], v[69:70]
	v_add_f64 v[53:54], v[53:54], -v[75:76]
	v_add_f64 v[87:88], v[87:88], v[65:66]
	s_waitcnt vmcnt(6)
	v_add_f64 v[51:52], v[51:52], -v[77:78]
	s_waitcnt vmcnt(4)
	v_add_f64 v[47:48], v[47:48], v[81:82]
	v_add_f64 v[53:54], v[53:54], v[77:78]
	;; [unrolled: 1-line block ×3, first 2 shown]
	v_mul_f64 v[87:88], v[95:96], v[15:16]
	v_add_f64 v[51:52], v[51:52], v[79:80]
	s_waitcnt vmcnt(3)
	v_add_f64 v[47:48], v[47:48], -v[83:84]
	v_add_f64 v[53:54], v[53:54], -v[79:80]
	v_add_f64 v[59:60], v[59:60], v[69:70]
	v_mul_f64 v[87:88], s[60:61], v[87:88]
	v_add_f64 v[51:52], v[51:52], v[81:82]
	s_waitcnt vmcnt(1)
	v_add_f64 v[47:48], v[47:48], v[85:86]
	v_add_f64 v[59:60], v[59:60], v[57:58]
	v_fma_f64 v[73:74], s[62:63], v[73:74], -v[87:88]
	v_add_co_u32 v87, vcc_lo, s70, v23
	v_add_co_ci_u32_e64 v88, null, s71, v24, vcc_lo
	v_add_co_u32 v91, vcc_lo, s72, v23
	v_add_co_ci_u32_e64 v92, null, s73, v24, vcc_lo
	;; [unrolled: 2-line block ×3, first 2 shown]
	global_load_dwordx2 v[23:24], v[87:88], off
	global_load_dwordx2 v[87:88], v[91:92], off
	v_add_f64 v[51:52], v[51:52], -v[83:84]
	v_add_f64 v[59:60], v[59:60], v[75:76]
	v_fma_f64 v[73:74], s[60:61], v[49:50], v[73:74]
	v_add_f64 v[59:60], v[59:60], v[77:78]
	global_store_dwordx2 v[71:72], v[73:74], off
	global_load_dwordx2 v[71:72], v[93:94], off
	v_mul_f64 v[73:74], v[39:40], v[15:16]
	v_add_f64 v[59:60], v[59:60], v[79:80]
	v_fma_f64 v[53:54], v[73:74], 0.5, v[53:54]
	v_add_f64 v[59:60], v[59:60], v[81:82]
	v_add_f64 v[59:60], v[59:60], v[83:84]
	;; [unrolled: 1-line block ×3, first 2 shown]
	s_waitcnt vmcnt(3)
	v_add_f64 v[47:48], v[47:48], -v[89:90]
	v_add_f64 v[59:60], v[59:60], v[89:90]
	v_div_scale_f64 v[91:92], null, v[59:60], v[59:60], v[53:54]
	v_div_scale_f64 v[99:100], vcc_lo, v[53:54], v[59:60], v[53:54]
	v_rcp_f64_e32 v[95:96], v[91:92]
	v_fma_f64 v[97:98], -v[91:92], v[95:96], 1.0
	v_fma_f64 v[95:96], v[95:96], v[97:98], v[95:96]
	v_fma_f64 v[97:98], -v[91:92], v[95:96], 1.0
	v_fma_f64 v[95:96], v[95:96], v[97:98], v[95:96]
	v_mul_f64 v[97:98], s[58:59], 0.5
	v_mul_f64 v[101:102], v[99:100], v[95:96]
	v_mul_f64 v[97:98], v[97:98], v[15:16]
	v_fma_f64 v[91:92], -v[91:92], v[101:102], v[99:100]
	v_mul_f64 v[99:100], s[60:61], s[64:65]
	v_mul_f64 v[97:98], s[60:61], v[97:98]
	v_div_fmas_f64 v[91:92], v[91:92], v[95:96], v[101:102]
	v_mul_f64 v[95:96], v[99:100], v[49:50]
	s_waitcnt vmcnt(0)
	v_fma_f64 v[71:72], s[62:63], v[71:72], v[97:98]
	v_div_fixup_f64 v[53:54], v[91:92], v[59:60], v[53:54]
	v_add_co_u32 v91, vcc_lo, s78, v45
	v_add_co_ci_u32_e64 v92, null, s79, v46, vcc_lo
	v_add_co_u32 v63, vcc_lo, s36, v45
	v_add_co_ci_u32_e64 v64, null, s37, v46, vcc_lo
	v_fma_f64 v[71:72], v[95:96], v[53:54], v[71:72]
	global_store_dwordx2 v[93:94], v[71:72], off
	global_load_dwordx2 v[71:72], v[91:92], off
	s_waitcnt vmcnt(0)
	v_fma_f64 v[61:62], s[62:63], v[71:72], v[97:98]
	v_fma_f64 v[61:62], -v[95:96], v[53:54], v[61:62]
	global_store_dwordx2 v[91:92], v[61:62], off
	global_load_dwordx2 v[65:66], v[63:64], off
	v_mul_f64 v[61:62], v[15:16], v[23:24]
	v_fma_f64 v[47:48], v[61:62], 0.5, v[47:48]
	v_div_scale_f64 v[67:68], null, v[59:60], v[59:60], v[47:48]
	v_div_scale_f64 v[91:92], vcc_lo, v[47:48], v[59:60], v[47:48]
	v_rcp_f64_e32 v[69:70], v[67:68]
	v_fma_f64 v[71:72], -v[67:68], v[69:70], 1.0
	v_fma_f64 v[69:70], v[69:70], v[71:72], v[69:70]
	v_fma_f64 v[71:72], -v[67:68], v[69:70], 1.0
	v_fma_f64 v[69:70], v[69:70], v[71:72], v[69:70]
	v_mul_f64 v[71:72], v[91:92], v[69:70]
	v_fma_f64 v[67:68], -v[67:68], v[71:72], v[91:92]
	v_div_fmas_f64 v[67:68], v[67:68], v[69:70], v[71:72]
	v_div_fixup_f64 v[47:48], v[67:68], v[59:60], v[47:48]
	v_add_co_u32 v67, vcc_lo, s38, v45
	v_add_co_ci_u32_e64 v68, null, s39, v46, vcc_lo
	v_add_co_u32 v57, vcc_lo, s40, v45
	v_add_co_ci_u32_e64 v58, null, s41, v46, vcc_lo
	s_waitcnt vmcnt(0)
	v_fma_f64 v[65:66], s[62:63], v[65:66], v[97:98]
	v_fma_f64 v[65:66], v[95:96], v[47:48], v[65:66]
	global_store_dwordx2 v[63:64], v[65:66], off
	global_load_dwordx2 v[63:64], v[67:68], off
	s_waitcnt vmcnt(0)
	v_fma_f64 v[55:56], s[62:63], v[63:64], v[97:98]
	v_fma_f64 v[55:56], -v[95:96], v[47:48], v[55:56]
	global_store_dwordx2 v[67:68], v[55:56], off
	global_load_dwordx2 v[63:64], v[57:58], off
	v_add_f64 v[55:56], v[51:52], -v[85:86]
	v_mul_f64 v[51:52], v[15:16], v[87:88]
	v_add_f64 v[55:56], v[55:56], v[89:90]
	v_fma_f64 v[55:56], v[51:52], 0.5, v[55:56]
	v_div_scale_f64 v[65:66], null, v[59:60], v[59:60], v[55:56]
	v_div_scale_f64 v[71:72], vcc_lo, v[55:56], v[59:60], v[55:56]
	v_rcp_f64_e32 v[67:68], v[65:66]
	v_fma_f64 v[69:70], -v[65:66], v[67:68], 1.0
	v_fma_f64 v[67:68], v[67:68], v[69:70], v[67:68]
	v_fma_f64 v[69:70], -v[65:66], v[67:68], 1.0
	v_fma_f64 v[67:68], v[67:68], v[69:70], v[67:68]
	v_mul_f64 v[69:70], v[71:72], v[67:68]
	v_fma_f64 v[65:66], -v[65:66], v[69:70], v[71:72]
	v_div_fmas_f64 v[65:66], v[65:66], v[67:68], v[69:70]
	v_add_co_u32 v45, vcc_lo, s42, v45
	v_add_co_ci_u32_e64 v46, null, s43, v46, vcc_lo
	s_clause 0x1
	s_load_dwordx8 s[36:43], s[4:5], 0x160
	s_load_dwordx4 s[4:7], s[4:5], 0x180
	v_div_fixup_f64 v[55:56], v[65:66], v[59:60], v[55:56]
	v_mul_f64 v[65:66], v[61:62], v[47:48]
	v_fma_f64 v[65:66], v[73:74], v[53:54], v[65:66]
	s_waitcnt vmcnt(0)
	v_fma_f64 v[63:64], s[62:63], v[63:64], v[97:98]
	v_fma_f64 v[63:64], v[95:96], v[55:56], v[63:64]
	global_store_dwordx2 v[57:58], v[63:64], off
	global_load_dwordx2 v[57:58], v[45:46], off
	v_mul_f64 v[63:64], 0xc0180000, v[49:50]
	v_fma_f64 v[63:64], v[63:64], v[15:16], v[59:60]
	s_waitcnt vmcnt(0)
	v_fma_f64 v[57:58], s[62:63], v[57:58], v[97:98]
	v_fma_f64 v[57:58], -v[95:96], v[55:56], v[57:58]
	global_store_dwordx2 v[45:46], v[57:58], off
	global_load_dwordx2 v[57:58], v[31:32], off
	v_mul_f64 v[45:46], v[47:48], v[47:48]
	v_fma_f64 v[45:46], v[53:54], v[53:54], v[45:46]
	v_fma_f64 v[45:46], v[55:56], v[55:56], v[45:46]
	v_mul_f64 v[45:46], 0x3ff80000, v[45:46]
	v_fma_f64 v[63:64], -v[59:60], v[45:46], v[63:64]
	s_waitcnt vmcnt(0)
	v_mul_f64 v[57:58], s[66:67], v[57:58]
	s_waitcnt lgkmcnt(0)
	v_fma_f64 v[63:64], s[40:41], v[63:64], v[57:58]
	v_fma_f64 v[57:58], v[51:52], v[55:56], v[65:66]
	v_mul_f64 v[65:66], s[36:37], v[59:60]
	v_fma_f64 v[63:64], -s[42:43], v[57:58], v[63:64]
	v_fma_f64 v[67:68], v[73:74], v[53:54], -v[57:58]
	v_mul_f64 v[69:70], v[65:66], v[53:54]
	global_store_dwordx2 v[31:32], v[63:64], off
	global_load_dwordx2 v[29:30], v[29:30], off
	v_mul_f64 v[31:32], 0x40080000, v[49:50]
	v_mul_f64 v[49:50], v[53:54], 0.5
	v_fma_f64 v[63:64], v[31:32], v[15:16], v[59:60]
	v_fma_f64 v[31:32], v[53:54], v[49:50], -v[45:46]
	v_mul_f64 v[49:50], s[36:37], v[63:64]
	v_fma_f64 v[31:32], v[65:66], v[31:32], v[49:50]
	v_fma_f64 v[31:32], s[4:5], v[67:68], v[31:32]
	;; [unrolled: 1-line block ×3, first 2 shown]
	v_add_nc_u32_e32 v69, s90, v0
	v_ashrrev_i32_e32 v70, 31, v69
	v_lshlrev_b64 v[70:71], 3, v[69:70]
	v_add_co_u32 v72, vcc_lo, s46, v70
	v_add_co_ci_u32_e64 v73, null, s47, v71, vcc_lo
	s_waitcnt vmcnt(0)
	v_fma_f64 v[29:30], s[66:67], v[29:30], v[31:32]
	v_add_f64 v[29:30], v[67:68], v[29:30]
	global_store_dwordx2 v[72:73], v[29:30], off offset:8
	global_load_dwordx2 v[29:30], v[43:44], off
	v_mul_f64 v[43:44], v[65:66], v[47:48]
	s_waitcnt vmcnt(0)
	v_fma_f64 v[29:30], s[66:67], v[29:30], v[31:32]
	v_add_co_u32 v31, vcc_lo, s48, v70
	v_add_co_ci_u32_e64 v32, null, s49, v71, vcc_lo
	v_add_f64 v[29:30], v[29:30], -v[67:68]
	global_store_dwordx2 v[31:32], v[29:30], off offset:-8
	global_load_dwordx2 v[29:30], v[41:42], off
	v_mul_f64 v[31:32], v[47:48], 0.5
	v_fma_f64 v[41:42], v[61:62], v[47:48], -v[57:58]
	v_fma_f64 v[31:32], v[47:48], v[31:32], -v[45:46]
	v_fma_f64 v[31:32], v[65:66], v[31:32], v[49:50]
	v_fma_f64 v[31:32], s[4:5], v[41:42], v[31:32]
	;; [unrolled: 1-line block ×3, first 2 shown]
	s_waitcnt vmcnt(0)
	v_fma_f64 v[43:44], s[66:67], v[29:30], v[31:32]
	v_add_nc_u32_e32 v29, s3, v69
	v_ashrrev_i32_e32 v30, 31, v29
	v_lshlrev_b64 v[67:68], 3, v[29:30]
	v_subrev_nc_u32_e32 v30, s3, v69
	v_add_co_u32 v70, vcc_lo, s50, v67
	v_add_co_ci_u32_e64 v71, null, s51, v68, vcc_lo
	v_add_f64 v[43:44], v[41:42], v[43:44]
	global_store_dwordx2 v[70:71], v[43:44], off
	global_load_dwordx2 v[35:36], v[35:36], off
	v_mul_f64 v[43:44], v[65:66], v[55:56]
	s_waitcnt vmcnt(0)
	v_fma_f64 v[31:32], s[66:67], v[35:36], v[31:32]
	v_add_f64 v[35:36], v[31:32], -v[41:42]
	v_ashrrev_i32_e32 v31, 31, v30
	v_lshlrev_b64 v[31:32], 3, v[30:31]
	v_add_co_u32 v41, vcc_lo, s8, v31
	v_add_co_ci_u32_e64 v42, null, s9, v32, vcc_lo
	global_store_dwordx2 v[41:42], v[35:36], off
	global_load_dwordx2 v[25:26], v[25:26], off
	v_mul_f64 v[35:36], v[55:56], 0.5
	v_fma_f64 v[41:42], v[51:52], v[55:56], -v[57:58]
	v_fma_f64 v[35:36], v[55:56], v[35:36], -v[45:46]
	v_fma_f64 v[35:36], v[65:66], v[35:36], v[49:50]
	v_fma_f64 v[35:36], s[4:5], v[41:42], v[35:36]
	;; [unrolled: 1-line block ×3, first 2 shown]
	v_add_nc_u32_e32 v43, s0, v69
	v_ashrrev_i32_e32 v44, 31, v43
	v_lshlrev_b64 v[43:44], 3, v[43:44]
	v_add_co_u32 v49, vcc_lo, s10, v43
	v_add_co_ci_u32_e64 v50, null, s11, v44, vcc_lo
	s_waitcnt vmcnt(0)
	v_fma_f64 v[25:26], s[66:67], v[25:26], v[35:36]
	v_add_f64 v[25:26], v[41:42], v[25:26]
	global_store_dwordx2 v[49:50], v[25:26], off
	global_load_dwordx2 v[19:20], v[19:20], off
	v_subrev_nc_u32_e32 v25, s0, v69
	v_fma_f64 v[49:50], v[39:40], v[15:16], v[61:62]
	v_ashrrev_i32_e32 v26, 31, v25
	v_lshlrev_b64 v[25:26], 3, v[25:26]
	s_waitcnt vmcnt(0)
	v_fma_f64 v[19:20], s[66:67], v[19:20], v[35:36]
	v_add_co_u32 v35, vcc_lo, s12, v25
	v_add_co_ci_u32_e64 v36, null, s13, v26, vcc_lo
	v_add_f64 v[19:20], v[19:20], -v[41:42]
	v_mul_f64 v[41:42], s[38:39], v[59:60]
	v_mul_f64 v[59:60], s[38:39], v[63:64]
	global_store_dwordx2 v[35:36], v[19:20], off
	global_load_dwordx2 v[11:12], v[11:12], off
	v_add_f64 v[19:20], v[53:54], v[47:48]
	v_mul_f64 v[35:36], v[19:20], 0.5
	v_fma_f64 v[63:64], v[49:50], v[19:20], -v[57:58]
	v_fma_f64 v[35:36], v[19:20], v[35:36], -v[45:46]
	v_mul_f64 v[19:20], v[41:42], v[19:20]
	v_fma_f64 v[35:36], v[41:42], v[35:36], v[59:60]
	v_fma_f64 v[19:20], s[6:7], v[49:50], v[19:20]
	v_add_co_u32 v49, vcc_lo, s14, v67
	v_add_co_ci_u32_e64 v50, null, s15, v68, vcc_lo
	v_fma_f64 v[35:36], s[6:7], v[63:64], v[35:36]
	s_waitcnt vmcnt(0)
	v_fma_f64 v[11:12], s[66:67], v[11:12], v[35:36]
	v_add_f64 v[11:12], v[19:20], v[11:12]
	global_store_dwordx2 v[49:50], v[11:12], off offset:8
	global_load_dwordx2 v[11:12], v[13:14], off
	v_add_co_u32 v13, vcc_lo, s16, v31
	v_add_co_ci_u32_e64 v14, null, s17, v32, vcc_lo
	s_waitcnt vmcnt(0)
	v_fma_f64 v[11:12], s[66:67], v[11:12], v[35:36]
	v_add_f64 v[11:12], v[11:12], -v[19:20]
	v_fma_f64 v[19:20], v[39:40], v[15:16], -v[61:62]
	global_store_dwordx2 v[13:14], v[11:12], off offset:-8
	global_load_dwordx2 v[7:8], v[7:8], off
	v_add_f64 v[11:12], v[53:54], -v[47:48]
	v_mul_f64 v[13:14], v[11:12], 0.5
	v_fma_f64 v[35:36], v[19:20], v[11:12], -v[57:58]
	v_fma_f64 v[13:14], v[11:12], v[13:14], -v[45:46]
	v_mul_f64 v[11:12], v[41:42], v[11:12]
	v_fma_f64 v[13:14], v[41:42], v[13:14], v[59:60]
	v_fma_f64 v[11:12], s[6:7], v[19:20], v[11:12]
	v_add_co_u32 v19, vcc_lo, s18, v31
	v_add_co_ci_u32_e64 v20, null, s19, v32, vcc_lo
	v_fma_f64 v[13:14], s[6:7], v[35:36], v[13:14]
	s_waitcnt vmcnt(0)
	v_fma_f64 v[7:8], s[66:67], v[7:8], v[13:14]
	v_add_f64 v[7:8], v[11:12], v[7:8]
	global_store_dwordx2 v[19:20], v[7:8], off offset:8
	global_load_dwordx2 v[3:4], v[3:4], off
	v_add_co_u32 v7, vcc_lo, s20, v67
	v_add_co_ci_u32_e64 v8, null, s21, v68, vcc_lo
	s_waitcnt vmcnt(0)
	v_fma_f64 v[3:4], s[66:67], v[3:4], v[13:14]
	v_add_f64 v[3:4], v[3:4], -v[11:12]
	v_fma_f64 v[11:12], v[39:40], v[15:16], v[51:52]
	global_store_dwordx2 v[7:8], v[3:4], off offset:-8
	global_load_dwordx2 v[0:1], v[1:2], off
	v_add_f64 v[2:3], v[53:54], v[55:56]
	v_add_nc_u32_e32 v4, s0, v30
	v_mul_f64 v[7:8], v[2:3], 0.5
	v_fma_f64 v[13:14], v[11:12], v[2:3], -v[57:58]
	v_fma_f64 v[7:8], v[2:3], v[7:8], -v[45:46]
	v_mul_f64 v[2:3], v[41:42], v[2:3]
	v_fma_f64 v[7:8], v[41:42], v[7:8], v[59:60]
	v_fma_f64 v[2:3], s[6:7], v[11:12], v[2:3]
	v_add_co_u32 v11, vcc_lo, s22, v43
	v_add_co_ci_u32_e64 v12, null, s23, v44, vcc_lo
	v_fma_f64 v[7:8], s[6:7], v[13:14], v[7:8]
	s_waitcnt vmcnt(0)
	v_fma_f64 v[0:1], s[66:67], v[0:1], v[7:8]
	v_add_f64 v[0:1], v[2:3], v[0:1]
	global_store_dwordx2 v[11:12], v[0:1], off offset:8
	global_load_dwordx2 v[0:1], v[37:38], off
	v_fma_f64 v[11:12], v[39:40], v[15:16], -v[51:52]
	s_waitcnt vmcnt(0)
	v_fma_f64 v[0:1], s[66:67], v[0:1], v[7:8]
	v_add_f64 v[0:1], v[0:1], -v[2:3]
	v_add_co_u32 v2, vcc_lo, s24, v25
	v_add_co_ci_u32_e64 v3, null, s25, v26, vcc_lo
	global_store_dwordx2 v[2:3], v[0:1], off offset:-8
	global_load_dwordx2 v[0:1], v[33:34], off
	v_add_f64 v[2:3], v[53:54], -v[55:56]
	v_mul_f64 v[7:8], v[2:3], 0.5
	v_fma_f64 v[13:14], v[11:12], v[2:3], -v[57:58]
	v_fma_f64 v[7:8], v[2:3], v[7:8], -v[45:46]
	v_mul_f64 v[2:3], v[41:42], v[2:3]
	v_fma_f64 v[7:8], v[41:42], v[7:8], v[59:60]
	v_fma_f64 v[2:3], s[6:7], v[11:12], v[2:3]
	v_add_co_u32 v11, vcc_lo, s26, v25
	v_add_co_ci_u32_e64 v12, null, s27, v26, vcc_lo
	v_fma_f64 v[7:8], s[6:7], v[13:14], v[7:8]
	s_waitcnt vmcnt(0)
	v_fma_f64 v[0:1], s[66:67], v[0:1], v[7:8]
	v_add_f64 v[0:1], v[2:3], v[0:1]
	global_store_dwordx2 v[11:12], v[0:1], off offset:8
	global_load_dwordx2 v[0:1], v[27:28], off
	v_fma_f64 v[11:12], v[15:16], v[23:24], v[51:52]
	s_waitcnt vmcnt(0)
	v_fma_f64 v[0:1], s[66:67], v[0:1], v[7:8]
	v_add_f64 v[0:1], v[0:1], -v[2:3]
	v_add_co_u32 v2, vcc_lo, s28, v43
	v_add_co_ci_u32_e64 v3, null, s29, v44, vcc_lo
	global_store_dwordx2 v[2:3], v[0:1], off offset:-8
	global_load_dwordx2 v[0:1], v[21:22], off
	v_add_f64 v[2:3], v[47:48], v[55:56]
	v_mul_f64 v[7:8], v[2:3], 0.5
	v_fma_f64 v[13:14], v[11:12], v[2:3], -v[57:58]
	v_fma_f64 v[7:8], v[2:3], v[7:8], -v[45:46]
	v_mul_f64 v[2:3], v[41:42], v[2:3]
	v_fma_f64 v[7:8], v[41:42], v[7:8], v[59:60]
	v_fma_f64 v[2:3], s[6:7], v[11:12], v[2:3]
	v_add_nc_u32_e32 v11, s0, v29
	v_ashrrev_i32_e32 v12, 31, v11
	v_lshlrev_b64 v[11:12], 3, v[11:12]
	v_add_co_u32 v11, vcc_lo, s30, v11
	v_add_co_ci_u32_e64 v12, null, s31, v12, vcc_lo
	v_fma_f64 v[7:8], s[6:7], v[13:14], v[7:8]
	s_waitcnt vmcnt(0)
	v_fma_f64 v[0:1], s[66:67], v[0:1], v[7:8]
	v_add_f64 v[0:1], v[2:3], v[0:1]
	global_store_dwordx2 v[11:12], v[0:1], off
	global_load_dwordx2 v[0:1], v[17:18], off
	s_waitcnt vmcnt(0)
	v_fma_f64 v[0:1], s[66:67], v[0:1], v[7:8]
	v_subrev_nc_u32_e32 v7, s0, v30
	v_ashrrev_i32_e32 v8, 31, v7
	v_add_f64 v[0:1], v[0:1], -v[2:3]
	v_lshlrev_b64 v[2:3], 3, v[7:8]
	v_add_co_u32 v2, vcc_lo, s80, v2
	v_add_co_ci_u32_e64 v3, null, s81, v3, vcc_lo
	global_store_dwordx2 v[2:3], v[0:1], off
	global_load_dwordx2 v[0:1], v[9:10], off
	v_add_f64 v[2:3], v[47:48], -v[55:56]
	v_fma_f64 v[9:10], v[15:16], v[23:24], -v[51:52]
	v_mul_f64 v[7:8], v[2:3], 0.5
	v_fma_f64 v[11:12], v[9:10], v[2:3], -v[57:58]
	v_fma_f64 v[7:8], v[2:3], v[7:8], -v[45:46]
	v_mul_f64 v[2:3], v[41:42], v[2:3]
	v_fma_f64 v[7:8], v[41:42], v[7:8], v[59:60]
	v_fma_f64 v[2:3], s[6:7], v[9:10], v[2:3]
	v_subrev_nc_u32_e32 v9, s0, v29
	v_ashrrev_i32_e32 v10, 31, v9
	v_lshlrev_b64 v[9:10], 3, v[9:10]
	v_add_co_u32 v9, vcc_lo, s82, v9
	v_add_co_ci_u32_e64 v10, null, s83, v10, vcc_lo
	v_fma_f64 v[7:8], s[6:7], v[11:12], v[7:8]
	s_waitcnt vmcnt(0)
	v_fma_f64 v[0:1], s[66:67], v[0:1], v[7:8]
	v_add_f64 v[0:1], v[2:3], v[0:1]
	global_store_dwordx2 v[9:10], v[0:1], off
	global_load_dwordx2 v[0:1], v[5:6], off
	v_ashrrev_i32_e32 v5, 31, v4
	s_waitcnt vmcnt(0)
	v_fma_f64 v[0:1], s[66:67], v[0:1], v[7:8]
	v_add_f64 v[0:1], v[0:1], -v[2:3]
	v_lshlrev_b64 v[2:3], 3, v[4:5]
	v_add_co_u32 v2, vcc_lo, s84, v2
	v_add_co_ci_u32_e64 v3, null, s85, v3, vcc_lo
	global_store_dwordx2 v[2:3], v[0:1], off
.LBB0_2:
	s_endpgm
	.section	.rodata,"a",@progbits
	.p2align	6, 0x0
	.amdhsa_kernel _Z6kernelPdS_S_S_S_S_S_S_S_S_S_S_S_S_S_S_S_S_S_S_S_S_S_S_S_S_S_S_S_S_S_iiiiiiiddddddddddddddd
		.amdhsa_group_segment_fixed_size 0
		.amdhsa_private_segment_fixed_size 0
		.amdhsa_kernarg_size 656
		.amdhsa_user_sgpr_count 6
		.amdhsa_user_sgpr_private_segment_buffer 1
		.amdhsa_user_sgpr_dispatch_ptr 0
		.amdhsa_user_sgpr_queue_ptr 0
		.amdhsa_user_sgpr_kernarg_segment_ptr 1
		.amdhsa_user_sgpr_dispatch_id 0
		.amdhsa_user_sgpr_flat_scratch_init 0
		.amdhsa_user_sgpr_private_segment_size 0
		.amdhsa_wavefront_size32 1
		.amdhsa_uses_dynamic_stack 0
		.amdhsa_system_sgpr_private_segment_wavefront_offset 0
		.amdhsa_system_sgpr_workgroup_id_x 1
		.amdhsa_system_sgpr_workgroup_id_y 1
		.amdhsa_system_sgpr_workgroup_id_z 1
		.amdhsa_system_sgpr_workgroup_info 0
		.amdhsa_system_vgpr_workitem_id 2
		.amdhsa_next_free_vgpr 103
		.amdhsa_next_free_sgpr 92
		.amdhsa_reserve_vcc 1
		.amdhsa_reserve_flat_scratch 0
		.amdhsa_float_round_mode_32 0
		.amdhsa_float_round_mode_16_64 0
		.amdhsa_float_denorm_mode_32 3
		.amdhsa_float_denorm_mode_16_64 3
		.amdhsa_dx10_clamp 1
		.amdhsa_ieee_mode 1
		.amdhsa_fp16_overflow 0
		.amdhsa_workgroup_processor_mode 1
		.amdhsa_memory_ordered 1
		.amdhsa_forward_progress 1
		.amdhsa_shared_vgpr_count 0
		.amdhsa_exception_fp_ieee_invalid_op 0
		.amdhsa_exception_fp_denorm_src 0
		.amdhsa_exception_fp_ieee_div_zero 0
		.amdhsa_exception_fp_ieee_overflow 0
		.amdhsa_exception_fp_ieee_underflow 0
		.amdhsa_exception_fp_ieee_inexact 0
		.amdhsa_exception_int_div_zero 0
	.end_amdhsa_kernel
	.text
.Lfunc_end0:
	.size	_Z6kernelPdS_S_S_S_S_S_S_S_S_S_S_S_S_S_S_S_S_S_S_S_S_S_S_S_S_S_S_S_S_S_iiiiiiiddddddddddddddd, .Lfunc_end0-_Z6kernelPdS_S_S_S_S_S_S_S_S_S_S_S_S_S_S_S_S_S_S_S_S_S_S_S_S_S_S_S_S_S_iiiiiiiddddddddddddddd
                                        ; -- End function
	.set _Z6kernelPdS_S_S_S_S_S_S_S_S_S_S_S_S_S_S_S_S_S_S_S_S_S_S_S_S_S_S_S_S_S_iiiiiiiddddddddddddddd.num_vgpr, 103
	.set _Z6kernelPdS_S_S_S_S_S_S_S_S_S_S_S_S_S_S_S_S_S_S_S_S_S_S_S_S_S_S_S_S_S_iiiiiiiddddddddddddddd.num_agpr, 0
	.set _Z6kernelPdS_S_S_S_S_S_S_S_S_S_S_S_S_S_S_S_S_S_S_S_S_S_S_S_S_S_S_S_S_S_iiiiiiiddddddddddddddd.numbered_sgpr, 92
	.set _Z6kernelPdS_S_S_S_S_S_S_S_S_S_S_S_S_S_S_S_S_S_S_S_S_S_S_S_S_S_S_S_S_S_iiiiiiiddddddddddddddd.num_named_barrier, 0
	.set _Z6kernelPdS_S_S_S_S_S_S_S_S_S_S_S_S_S_S_S_S_S_S_S_S_S_S_S_S_S_S_S_S_S_iiiiiiiddddddddddddddd.private_seg_size, 0
	.set _Z6kernelPdS_S_S_S_S_S_S_S_S_S_S_S_S_S_S_S_S_S_S_S_S_S_S_S_S_S_S_S_S_S_iiiiiiiddddddddddddddd.uses_vcc, 1
	.set _Z6kernelPdS_S_S_S_S_S_S_S_S_S_S_S_S_S_S_S_S_S_S_S_S_S_S_S_S_S_S_S_S_S_iiiiiiiddddddddddddddd.uses_flat_scratch, 0
	.set _Z6kernelPdS_S_S_S_S_S_S_S_S_S_S_S_S_S_S_S_S_S_S_S_S_S_S_S_S_S_S_S_S_S_iiiiiiiddddddddddddddd.has_dyn_sized_stack, 0
	.set _Z6kernelPdS_S_S_S_S_S_S_S_S_S_S_S_S_S_S_S_S_S_S_S_S_S_S_S_S_S_S_S_S_S_iiiiiiiddddddddddddddd.has_recursion, 0
	.set _Z6kernelPdS_S_S_S_S_S_S_S_S_S_S_S_S_S_S_S_S_S_S_S_S_S_S_S_S_S_S_S_S_S_iiiiiiiddddddddddddddd.has_indirect_call, 0
	.section	.AMDGPU.csdata,"",@progbits
; Kernel info:
; codeLenInByte = 3868
; TotalNumSgprs: 94
; NumVgprs: 103
; ScratchSize: 0
; MemoryBound: 0
; FloatMode: 240
; IeeeMode: 1
; LDSByteSize: 0 bytes/workgroup (compile time only)
; SGPRBlocks: 0
; VGPRBlocks: 12
; NumSGPRsForWavesPerEU: 94
; NumVGPRsForWavesPerEU: 103
; Occupancy: 9
; WaveLimiterHint : 1
; COMPUTE_PGM_RSRC2:SCRATCH_EN: 0
; COMPUTE_PGM_RSRC2:USER_SGPR: 6
; COMPUTE_PGM_RSRC2:TRAP_HANDLER: 0
; COMPUTE_PGM_RSRC2:TGID_X_EN: 1
; COMPUTE_PGM_RSRC2:TGID_Y_EN: 1
; COMPUTE_PGM_RSRC2:TGID_Z_EN: 1
; COMPUTE_PGM_RSRC2:TIDIG_COMP_CNT: 2
	.text
	.p2alignl 6, 3214868480
	.fill 48, 4, 3214868480
	.section	.AMDGPU.gpr_maximums,"",@progbits
	.set amdgpu.max_num_vgpr, 0
	.set amdgpu.max_num_agpr, 0
	.set amdgpu.max_num_sgpr, 0
	.text
	.type	__hip_cuid_cc0c0effc67109e8,@object ; @__hip_cuid_cc0c0effc67109e8
	.section	.bss,"aw",@nobits
	.globl	__hip_cuid_cc0c0effc67109e8
__hip_cuid_cc0c0effc67109e8:
	.byte	0                               ; 0x0
	.size	__hip_cuid_cc0c0effc67109e8, 1

	.ident	"AMD clang version 22.0.0git (https://github.com/RadeonOpenCompute/llvm-project roc-7.2.4 26084 f58b06dce1f9c15707c5f808fd002e18c2accf7e)"
	.section	".note.GNU-stack","",@progbits
	.addrsig
	.addrsig_sym __hip_cuid_cc0c0effc67109e8
	.amdgpu_metadata
---
amdhsa.kernels:
  - .args:
      - .address_space:  global
        .offset:         0
        .size:           8
        .value_kind:     global_buffer
      - .address_space:  global
        .offset:         8
        .size:           8
        .value_kind:     global_buffer
      - .address_space:  global
        .offset:         16
        .size:           8
        .value_kind:     global_buffer
      - .address_space:  global
        .offset:         24
        .size:           8
        .value_kind:     global_buffer
      - .address_space:  global
        .offset:         32
        .size:           8
        .value_kind:     global_buffer
      - .address_space:  global
        .offset:         40
        .size:           8
        .value_kind:     global_buffer
      - .address_space:  global
        .offset:         48
        .size:           8
        .value_kind:     global_buffer
      - .address_space:  global
        .offset:         56
        .size:           8
        .value_kind:     global_buffer
      - .address_space:  global
        .offset:         64
        .size:           8
        .value_kind:     global_buffer
      - .address_space:  global
        .offset:         72
        .size:           8
        .value_kind:     global_buffer
      - .address_space:  global
        .offset:         80
        .size:           8
        .value_kind:     global_buffer
      - .address_space:  global
        .offset:         88
        .size:           8
        .value_kind:     global_buffer
      - .address_space:  global
        .offset:         96
        .size:           8
        .value_kind:     global_buffer
      - .address_space:  global
        .offset:         104
        .size:           8
        .value_kind:     global_buffer
      - .address_space:  global
        .offset:         112
        .size:           8
        .value_kind:     global_buffer
      - .address_space:  global
        .offset:         120
        .size:           8
        .value_kind:     global_buffer
      - .address_space:  global
        .offset:         128
        .size:           8
        .value_kind:     global_buffer
      - .address_space:  global
        .offset:         136
        .size:           8
        .value_kind:     global_buffer
      - .address_space:  global
        .offset:         144
        .size:           8
        .value_kind:     global_buffer
      - .address_space:  global
        .offset:         152
        .size:           8
        .value_kind:     global_buffer
      - .address_space:  global
        .offset:         160
        .size:           8
        .value_kind:     global_buffer
      - .address_space:  global
        .offset:         168
        .size:           8
        .value_kind:     global_buffer
      - .address_space:  global
        .offset:         176
        .size:           8
        .value_kind:     global_buffer
      - .address_space:  global
        .offset:         184
        .size:           8
        .value_kind:     global_buffer
      - .address_space:  global
        .offset:         192
        .size:           8
        .value_kind:     global_buffer
      - .address_space:  global
        .offset:         200
        .size:           8
        .value_kind:     global_buffer
      - .address_space:  global
        .offset:         208
        .size:           8
        .value_kind:     global_buffer
      - .address_space:  global
        .offset:         216
        .size:           8
        .value_kind:     global_buffer
      - .address_space:  global
        .offset:         224
        .size:           8
        .value_kind:     global_buffer
      - .address_space:  global
        .offset:         232
        .size:           8
        .value_kind:     global_buffer
      - .address_space:  global
        .offset:         240
        .size:           8
        .value_kind:     global_buffer
      - .offset:         248
        .size:           4
        .value_kind:     by_value
      - .offset:         252
        .size:           4
        .value_kind:     by_value
      - .offset:         256
        .size:           4
        .value_kind:     by_value
      - .offset:         260
        .size:           4
        .value_kind:     by_value
      - .offset:         264
        .size:           4
        .value_kind:     by_value
      - .offset:         268
        .size:           4
        .value_kind:     by_value
      - .offset:         272
        .size:           4
        .value_kind:     by_value
      - .offset:         280
        .size:           8
        .value_kind:     by_value
      - .offset:         288
        .size:           8
        .value_kind:     by_value
      - .offset:         296
        .size:           8
        .value_kind:     by_value
      - .offset:         304
        .size:           8
        .value_kind:     by_value
      - .offset:         312
        .size:           8
        .value_kind:     by_value
      - .offset:         320
        .size:           8
        .value_kind:     by_value
      - .offset:         328
        .size:           8
        .value_kind:     by_value
      - .offset:         336
        .size:           8
        .value_kind:     by_value
      - .offset:         344
        .size:           8
        .value_kind:     by_value
      - .offset:         352
        .size:           8
        .value_kind:     by_value
      - .offset:         360
        .size:           8
        .value_kind:     by_value
      - .offset:         368
        .size:           8
        .value_kind:     by_value
      - .offset:         376
        .size:           8
        .value_kind:     by_value
      - .offset:         384
        .size:           8
        .value_kind:     by_value
      - .offset:         392
        .size:           8
        .value_kind:     by_value
      - .offset:         400
        .size:           4
        .value_kind:     hidden_block_count_x
      - .offset:         404
        .size:           4
        .value_kind:     hidden_block_count_y
      - .offset:         408
        .size:           4
        .value_kind:     hidden_block_count_z
      - .offset:         412
        .size:           2
        .value_kind:     hidden_group_size_x
      - .offset:         414
        .size:           2
        .value_kind:     hidden_group_size_y
      - .offset:         416
        .size:           2
        .value_kind:     hidden_group_size_z
      - .offset:         418
        .size:           2
        .value_kind:     hidden_remainder_x
      - .offset:         420
        .size:           2
        .value_kind:     hidden_remainder_y
      - .offset:         422
        .size:           2
        .value_kind:     hidden_remainder_z
      - .offset:         440
        .size:           8
        .value_kind:     hidden_global_offset_x
      - .offset:         448
        .size:           8
        .value_kind:     hidden_global_offset_y
      - .offset:         456
        .size:           8
        .value_kind:     hidden_global_offset_z
      - .offset:         464
        .size:           2
        .value_kind:     hidden_grid_dims
    .group_segment_fixed_size: 0
    .kernarg_segment_align: 8
    .kernarg_segment_size: 656
    .language:       OpenCL C
    .language_version:
      - 2
      - 0
    .max_flat_workgroup_size: 1024
    .name:           _Z6kernelPdS_S_S_S_S_S_S_S_S_S_S_S_S_S_S_S_S_S_S_S_S_S_S_S_S_S_S_S_S_S_iiiiiiiddddddddddddddd
    .private_segment_fixed_size: 0
    .sgpr_count:     94
    .sgpr_spill_count: 0
    .symbol:         _Z6kernelPdS_S_S_S_S_S_S_S_S_S_S_S_S_S_S_S_S_S_S_S_S_S_S_S_S_S_S_S_S_S_iiiiiiiddddddddddddddd.kd
    .uniform_work_group_size: 1
    .uses_dynamic_stack: false
    .vgpr_count:     103
    .vgpr_spill_count: 0
    .wavefront_size: 32
    .workgroup_processor_mode: 1
amdhsa.target:   amdgcn-amd-amdhsa--gfx1030
amdhsa.version:
  - 1
  - 2
...

	.end_amdgpu_metadata
